;; amdgpu-corpus repo=ROCm/rocFFT kind=compiled arch=gfx1201 opt=O3
	.text
	.amdgcn_target "amdgcn-amd-amdhsa--gfx1201"
	.amdhsa_code_object_version 6
	.protected	bluestein_single_fwd_len40_dim1_dp_op_CI_CI ; -- Begin function bluestein_single_fwd_len40_dim1_dp_op_CI_CI
	.globl	bluestein_single_fwd_len40_dim1_dp_op_CI_CI
	.p2align	8
	.type	bluestein_single_fwd_len40_dim1_dp_op_CI_CI,@function
bluestein_single_fwd_len40_dim1_dp_op_CI_CI: ; @bluestein_single_fwd_len40_dim1_dp_op_CI_CI
; %bb.0:
	s_load_b128 s[4:7], s[0:1], 0x28
	v_mul_u32_u24_e32 v1, 0x199a, v0
	s_mov_b32 s2, exec_lo
	s_delay_alu instid0(VALU_DEP_1) | instskip(NEXT) | instid1(VALU_DEP_1)
	v_lshrrev_b32_e32 v1, 16, v1
	v_mad_co_u64_u32 v[52:53], null, ttmp9, 12, v[1:2]
	v_mov_b32_e32 v53, 0
	s_wait_kmcnt 0x0
	s_delay_alu instid0(VALU_DEP_1)
	v_cmpx_gt_u64_e64 s[4:5], v[52:53]
	s_cbranch_execz .LBB0_15
; %bb.1:
	v_mul_hi_u32 v2, 0xaaaaaaab, v52
	v_mul_lo_u16 v1, v1, 10
	s_clause 0x1
	s_load_b64 s[12:13], s[0:1], 0x0
	s_load_b64 s[4:5], s[0:1], 0x38
	s_delay_alu instid0(VALU_DEP_1) | instskip(NEXT) | instid1(VALU_DEP_3)
	v_sub_nc_u16 v0, v0, v1
	v_lshrrev_b32_e32 v2, 3, v2
	s_delay_alu instid0(VALU_DEP_2) | instskip(SKIP_1) | instid1(VALU_DEP_3)
	v_and_b32_e32 v57, 0xffff, v0
	v_cmp_gt_u16_e32 vcc_lo, 4, v0
	v_mul_lo_u32 v2, v2, 12
	s_delay_alu instid0(VALU_DEP_3)
	v_lshlrev_b32_e32 v67, 4, v57
	v_or_b32_e32 v58, 4, v57
	v_or_b32_e32 v59, 8, v57
	;; [unrolled: 1-line block ×4, first 2 shown]
	v_sub_nc_u32_e32 v1, v52, v2
	v_or_b32_e32 v62, 20, v57
	v_or_b32_e32 v63, 24, v57
	;; [unrolled: 1-line block ×4, first 2 shown]
	v_mul_u32_u24_e32 v72, 40, v1
	v_or_b32_e32 v66, 36, v57
	s_delay_alu instid0(VALU_DEP_2) | instskip(SKIP_1) | instid1(VALU_DEP_2)
	v_or_b32_e32 v0, v72, v57
	v_add_lshl_u32 v69, v72, v57, 4
	v_lshlrev_b32_e32 v68, 4, v0
	s_and_saveexec_b32 s3, vcc_lo
	s_cbranch_execz .LBB0_3
; %bb.2:
	s_load_b64 s[8:9], s[0:1], 0x18
	s_wait_kmcnt 0x0
	s_load_b128 s[8:11], s[8:9], 0x0
	s_clause 0x5
	global_load_b128 v[0:3], v67, s[12:13]
	global_load_b128 v[4:7], v67, s[12:13] offset:64
	global_load_b128 v[8:11], v67, s[12:13] offset:128
	global_load_b128 v[12:15], v67, s[12:13] offset:192
	global_load_b128 v[16:19], v67, s[12:13] offset:256
	global_load_b128 v[20:23], v67, s[12:13] offset:320
	s_wait_kmcnt 0x0
	v_mad_co_u64_u32 v[24:25], null, s10, v52, 0
	v_mad_co_u64_u32 v[26:27], null, s8, v57, 0
	v_mad_co_u64_u32 v[28:29], null, s8, v58, 0
	v_mad_co_u64_u32 v[30:31], null, s8, v59, 0
	v_mad_co_u64_u32 v[32:33], null, s8, v60, 0
	v_mad_co_u64_u32 v[34:35], null, s8, v61, 0
	v_mad_co_u64_u32 v[36:37], null, s8, v62, 0
	v_mad_co_u64_u32 v[38:39], null, s11, v52, v[25:26]
	v_mad_co_u64_u32 v[39:40], null, s9, v57, v[27:28]
	v_mad_co_u64_u32 v[40:41], null, s9, v58, v[29:30]
	v_mad_co_u64_u32 v[41:42], null, s9, v59, v[31:32]
	v_mad_co_u64_u32 v[42:43], null, s9, v60, v[33:34]
	v_mad_co_u64_u32 v[73:74], null, s8, v65, 0
	v_mad_co_u64_u32 v[75:76], null, s8, v66, 0
	v_mad_co_u64_u32 v[43:44], null, s9, v61, v[35:36]
	v_mad_co_u64_u32 v[48:49], null, s8, v63, 0
	v_mov_b32_e32 v25, v38
	v_mov_b32_e32 v27, v39
	v_dual_mov_b32 v33, v42 :: v_dual_mov_b32 v42, v74
	v_mov_b32_e32 v35, v43
	v_mov_b32_e32 v43, v76
	v_mad_co_u64_u32 v[70:71], null, s8, v64, 0
	v_mov_b32_e32 v31, v41
	v_lshlrev_b64_e32 v[26:27], 4, v[26:27]
	s_delay_alu instid0(VALU_DEP_4)
	v_mad_co_u64_u32 v[53:54], null, s9, v65, v[42:43]
	v_dual_mov_b32 v29, v40 :: v_dual_mov_b32 v40, v49
	v_lshlrev_b64_e32 v[24:25], 4, v[24:25]
	v_mov_b32_e32 v41, v71
	v_lshlrev_b64_e32 v[30:31], 4, v[30:31]
	v_mad_co_u64_u32 v[37:38], null, s9, v62, v[37:38]
	v_mov_b32_e32 v74, v53
	v_add_co_u32 v83, s2, s6, v24
	v_lshlrev_b64_e32 v[28:29], 4, v[28:29]
	v_add_co_ci_u32_e64 v84, s2, s7, v25, s2
	v_mad_co_u64_u32 v[44:45], null, s9, v63, v[40:41]
	s_delay_alu instid0(VALU_DEP_4) | instskip(SKIP_1) | instid1(VALU_DEP_3)
	v_add_co_u32 v26, s2, v83, v26
	s_wait_alu 0xf1ff
	v_add_co_ci_u32_e64 v27, s2, v84, v27, s2
	v_mad_co_u64_u32 v[50:51], null, s9, v64, v[41:42]
	v_lshlrev_b64_e32 v[24:25], 4, v[32:33]
	v_add_co_u32 v28, s2, v83, v28
	s_wait_alu 0xf1ff
	v_add_co_ci_u32_e64 v29, s2, v84, v29, s2
	v_add_co_u32 v32, s2, v83, v30
	v_lshlrev_b64_e32 v[34:35], 4, v[34:35]
	v_mov_b32_e32 v49, v44
	s_wait_alu 0xf1ff
	v_add_co_ci_u32_e64 v33, s2, v84, v31, s2
	v_add_co_u32 v38, s2, v83, v24
	v_lshlrev_b64_e32 v[36:37], 4, v[36:37]
	v_mad_co_u64_u32 v[76:77], null, s9, v66, v[43:44]
	v_mov_b32_e32 v71, v50
	s_wait_alu 0xf1ff
	v_add_co_ci_u32_e64 v39, s2, v84, v25, s2
	v_add_co_u32 v45, s2, v83, v34
	v_lshlrev_b64_e32 v[77:78], 4, v[48:49]
	s_wait_alu 0xf1ff
	v_add_co_ci_u32_e64 v46, s2, v84, v35, s2
	v_add_co_u32 v54, s2, v83, v36
	v_lshlrev_b64_e32 v[70:71], 4, v[70:71]
	s_wait_alu 0xf1ff
	v_add_co_ci_u32_e64 v55, s2, v84, v37, s2
	v_lshlrev_b64_e32 v[73:74], 4, v[73:74]
	v_lshlrev_b64_e32 v[79:80], 4, v[75:76]
	v_add_co_u32 v75, s2, v83, v77
	s_wait_alu 0xf1ff
	v_add_co_ci_u32_e64 v76, s2, v84, v78, s2
	v_add_co_u32 v70, s2, v83, v70
	s_clause 0x1
	global_load_b128 v[24:27], v[26:27], off
	global_load_b128 v[28:31], v[28:29], off
	s_wait_alu 0xf1ff
	v_add_co_ci_u32_e64 v71, s2, v84, v71, s2
	s_clause 0x1
	global_load_b128 v[32:35], v[32:33], off
	global_load_b128 v[36:39], v[38:39], off
	v_add_co_u32 v81, s2, v83, v73
	s_clause 0x1
	global_load_b128 v[40:43], v[45:46], off
	global_load_b128 v[44:47], v[54:55], off
	s_wait_alu 0xf1ff
	v_add_co_ci_u32_e64 v82, s2, v84, v74, s2
	s_clause 0x1
	global_load_b128 v[48:51], v67, s[12:13] offset:384
	global_load_b128 v[53:56], v67, s[12:13] offset:448
	global_load_b128 v[73:76], v[75:76], off
	v_add_co_u32 v93, s2, v83, v79
	s_wait_alu 0xf1ff
	v_add_co_ci_u32_e64 v94, s2, v84, v80, s2
	s_clause 0x1
	global_load_b128 v[77:80], v[70:71], off
	global_load_b128 v[81:84], v[81:82], off
	s_clause 0x1
	global_load_b128 v[85:88], v67, s[12:13] offset:512
	global_load_b128 v[89:92], v67, s[12:13] offset:576
	global_load_b128 v[93:96], v[93:94], off
	s_wait_loadcnt 0xd
	v_mul_f64_e32 v[70:71], v[26:27], v[2:3]
	v_mul_f64_e32 v[2:3], v[24:25], v[2:3]
	s_wait_loadcnt 0xc
	v_mul_f64_e32 v[97:98], v[30:31], v[6:7]
	v_mul_f64_e32 v[6:7], v[28:29], v[6:7]
	;; [unrolled: 3-line block ×10, first 2 shown]
	v_fma_f64 v[22:23], v[24:25], v[0:1], v[70:71]
	v_fma_f64 v[24:25], v[26:27], v[0:1], -v[2:3]
	v_fma_f64 v[0:1], v[28:29], v[4:5], v[97:98]
	v_fma_f64 v[2:3], v[30:31], v[4:5], -v[6:7]
	;; [unrolled: 2-line block ×10, first 2 shown]
	v_lshl_add_u32 v20, v72, 4, v67
	ds_store_b128 v68, v[22:25]
	ds_store_b128 v69, v[0:3] offset:64
	ds_store_b128 v20, v[4:7] offset:128
	;; [unrolled: 1-line block ×9, first 2 shown]
.LBB0_3:
	s_or_b32 exec_lo, exec_lo, s3
	s_load_b64 s[2:3], s[0:1], 0x20
	v_lshlrev_b32_e32 v70, 4, v72
	global_wb scope:SCOPE_SE
	s_wait_dscnt 0x0
	s_wait_kmcnt 0x0
	s_barrier_signal -1
	s_barrier_wait -1
	global_inv scope:SCOPE_SE
                                        ; implicit-def: $vgpr26_vgpr27
                                        ; implicit-def: $vgpr10_vgpr11
                                        ; implicit-def: $vgpr34_vgpr35
                                        ; implicit-def: $vgpr22_vgpr23
                                        ; implicit-def: $vgpr12_vgpr13
                                        ; implicit-def: $vgpr28_vgpr29
                                        ; implicit-def: $vgpr0_vgpr1
                                        ; implicit-def: $vgpr16_vgpr17
                                        ; implicit-def: $vgpr4_vgpr5
                                        ; implicit-def: $vgpr36_vgpr37
	s_and_saveexec_b32 s6, vcc_lo
	s_cbranch_execz .LBB0_5
; %bb.4:
	v_lshl_add_u32 v16, v57, 4, v70
	ds_load_b128 v[20:23], v68
	ds_load_b128 v[36:39], v68 offset:64
	ds_load_b128 v[4:7], v16 offset:128
	;; [unrolled: 1-line block ×9, first 2 shown]
.LBB0_5:
	s_wait_alu 0xfffe
	s_or_b32 exec_lo, exec_lo, s6
	s_wait_dscnt 0x2
	v_add_f64_e32 v[40:41], v[24:25], v[28:29]
	v_add_f64_e32 v[42:43], v[26:27], v[30:31]
	s_wait_dscnt 0x0
	v_add_f64_e32 v[44:45], v[34:35], v[18:19]
	v_add_f64_e32 v[46:47], v[32:33], v[16:17]
	v_add_f64_e64 v[48:49], v[34:35], -v[18:19]
	v_add_f64_e64 v[50:51], v[26:27], -v[30:31]
	v_add_f64_e64 v[53:54], v[32:33], -v[16:17]
	v_add_f64_e64 v[55:56], v[24:25], -v[28:29]
	s_mov_b32 s8, 0x134454ff
	s_mov_b32 s9, 0x3fee6f0e
	;; [unrolled: 1-line block ×3, first 2 shown]
	s_wait_alu 0xfffe
	s_mov_b32 s6, s8
	v_add_f64_e32 v[73:74], v[8:9], v[12:13]
	v_add_f64_e32 v[75:76], v[0:1], v[4:5]
	;; [unrolled: 1-line block ×4, first 2 shown]
	v_add_f64_e64 v[81:82], v[32:33], -v[24:25]
	v_add_f64_e64 v[83:84], v[16:17], -v[28:29]
	v_add_f64_e64 v[85:86], v[24:25], -v[32:33]
	v_add_f64_e64 v[87:88], v[28:29], -v[16:17]
	v_add_f64_e64 v[89:90], v[34:35], -v[26:27]
	v_add_f64_e64 v[91:92], v[18:19], -v[30:31]
	v_add_f64_e64 v[93:94], v[26:27], -v[34:35]
	v_add_f64_e64 v[95:96], v[30:31], -v[18:19]
	s_mov_b32 s10, 0x4755a5e
	s_mov_b32 s11, 0x3fe2cf23
	;; [unrolled: 1-line block ×3, first 2 shown]
	s_wait_alu 0xfffe
	s_mov_b32 s14, s10
	v_add_f64_e32 v[32:33], v[32:33], v[36:37]
	v_add_f64_e32 v[34:35], v[34:35], v[38:39]
	v_add_f64_e64 v[105:106], v[10:11], -v[14:15]
	v_add_f64_e32 v[107:108], v[22:23], v[6:7]
	v_add_f64_e64 v[109:110], v[4:5], -v[0:1]
	v_add_f64_e64 v[111:112], v[8:9], -v[12:13]
	s_mov_b32 s16, 0x372fe950
	s_mov_b32 s17, 0x3fd3c6ef
	;; [unrolled: 1-line block ×4, first 2 shown]
	v_fma_f64 v[40:41], v[40:41], -0.5, v[36:37]
	v_fma_f64 v[42:43], v[42:43], -0.5, v[38:39]
	;; [unrolled: 1-line block ×4, first 2 shown]
	v_add_f64_e32 v[36:37], v[20:21], v[4:5]
	v_add_f64_e64 v[38:39], v[6:7], -v[2:3]
	s_load_b64 s[0:1], s[0:1], 0x8
	v_mul_lo_u16 v71, v57, 10
	global_wb scope:SCOPE_SE
	s_wait_kmcnt 0x0
	s_barrier_signal -1
	s_barrier_wait -1
	global_inv scope:SCOPE_SE
	v_fma_f64 v[73:74], v[73:74], -0.5, v[20:21]
	v_fma_f64 v[20:21], v[75:76], -0.5, v[20:21]
	v_fma_f64 v[75:76], v[77:78], -0.5, v[22:23]
	v_fma_f64 v[22:23], v[79:80], -0.5, v[22:23]
	v_add_f64_e32 v[77:78], v[81:82], v[83:84]
	v_add_f64_e32 v[79:80], v[85:86], v[87:88]
	;; [unrolled: 1-line block ×3, first 2 shown]
	v_add_f64_e64 v[91:92], v[6:7], -v[10:11]
	v_add_f64_e32 v[83:84], v[93:94], v[95:96]
	v_add_f64_e64 v[93:94], v[2:3], -v[14:15]
	v_add_f64_e64 v[6:7], v[10:11], -v[6:7]
	;; [unrolled: 1-line block ×3, first 2 shown]
	v_add_f64_e32 v[24:25], v[24:25], v[32:33]
	v_add_f64_e32 v[26:27], v[26:27], v[34:35]
	v_add_f64_e32 v[10:11], v[10:11], v[107:108]
	v_fma_f64 v[97:98], v[48:49], s[6:7], v[40:41]
	v_fma_f64 v[99:100], v[53:54], s[8:9], v[42:43]
	;; [unrolled: 1-line block ×20, first 2 shown]
	v_add_f64_e64 v[48:49], v[4:5], -v[8:9]
	v_add_f64_e64 v[50:51], v[0:1], -v[12:13]
	;; [unrolled: 1-line block ×4, first 2 shown]
	v_add_f64_e32 v[8:9], v[8:9], v[36:37]
	v_fma_f64 v[36:37], v[105:106], s[6:7], v[20:21]
	v_fma_f64 v[20:21], v[105:106], s[8:9], v[20:21]
	;; [unrolled: 1-line block ×12, first 2 shown]
	v_add_f64_e32 v[44:45], v[50:51], v[48:49]
	v_add_f64_e32 v[48:49], v[93:94], v[91:92]
	v_add_f64_e32 v[46:47], v[53:54], v[4:5]
	v_add_f64_e32 v[50:51], v[95:96], v[6:7]
	v_add_f64_e32 v[4:5], v[12:13], v[8:9]
	v_add_f64_e32 v[6:7], v[14:15], v[10:11]
	v_add_f64_e32 v[8:9], v[28:29], v[24:25]
	v_add_f64_e32 v[10:11], v[30:31], v[26:27]
	v_fma_f64 v[12:13], v[105:106], s[10:11], v[32:33]
	v_fma_f64 v[14:15], v[105:106], s[14:15], v[34:35]
	;; [unrolled: 1-line block ×8, first 2 shown]
	v_mul_f64_e32 v[32:33], s[18:19], v[85:86]
	v_mul_f64_e32 v[34:35], s[18:19], v[87:88]
	;; [unrolled: 1-line block ×8, first 2 shown]
	v_add_f64_e32 v[0:1], v[0:1], v[4:5]
	v_add_f64_e32 v[40:41], v[2:3], v[6:7]
	;; [unrolled: 1-line block ×4, first 2 shown]
	v_fma_f64 v[4:5], v[44:45], s[16:17], v[12:13]
	v_fma_f64 v[14:15], v[44:45], s[16:17], v[14:15]
	;; [unrolled: 1-line block ×7, first 2 shown]
	v_fma_f64 v[18:19], v[87:88], s[10:11], -v[32:33]
	v_fma_f64 v[30:31], v[85:86], s[14:15], -v[34:35]
	v_fma_f64 v[10:11], v[77:78], s[18:19], v[36:37]
	v_fma_f64 v[36:37], v[79:80], s[16:17], v[38:39]
	v_fma_f64 v[38:39], v[83:84], s[8:9], -v[53:54]
	v_fma_f64 v[53:54], v[50:51], s[16:17], v[22:23]
	v_fma_f64 v[48:49], v[81:82], s[18:19], v[73:74]
	;; [unrolled: 1-line block ×3, first 2 shown]
	v_fma_f64 v[55:56], v[89:90], s[6:7], -v[91:92]
	v_add_f64_e64 v[24:25], v[0:1], -v[2:3]
	v_add_f64_e64 v[26:27], v[40:41], -v[42:43]
	v_add_f64_e32 v[20:21], v[14:15], v[18:19]
	v_add_f64_e32 v[22:23], v[93:94], v[30:31]
	v_add_f64_e64 v[16:17], v[4:5], -v[10:11]
	v_add_f64_e64 v[32:33], v[6:7], -v[36:37]
	;; [unrolled: 1-line block ×8, first 2 shown]
	s_and_saveexec_b32 s6, vcc_lo
	s_cbranch_execz .LBB0_7
; %bb.6:
	v_add_f64_e32 v[42:43], v[40:41], v[42:43]
	v_add_f64_e32 v[40:41], v[0:1], v[2:3]
	;; [unrolled: 1-line block ×8, first 2 shown]
	v_and_b32_e32 v0, 0xffff, v71
	s_delay_alu instid0(VALU_DEP_1)
	v_add_lshl_u32 v0, v72, v0, 4
	ds_store_b128 v0, v[20:23] offset:64
	ds_store_b128 v0, v[24:27] offset:80
	ds_store_b128 v0, v[16:19] offset:96
	ds_store_b128 v0, v[32:35] offset:112
	ds_store_b128 v0, v[40:43]
	ds_store_b128 v0, v[48:51] offset:16
	ds_store_b128 v0, v[44:47] offset:32
	;; [unrolled: 1-line block ×5, first 2 shown]
.LBB0_7:
	s_wait_alu 0xfffe
	s_or_b32 exec_lo, exec_lo, s6
	v_mad_co_u64_u32 v[0:1], null, v57, 48, s[0:1]
	s_load_b128 s[0:3], s[2:3], 0x0
	global_wb scope:SCOPE_SE
	s_wait_dscnt 0x0
	s_wait_kmcnt 0x0
	s_barrier_signal -1
	s_barrier_wait -1
	global_inv scope:SCOPE_SE
	s_clause 0x2
	global_load_b128 v[8:11], v[0:1], off
	global_load_b128 v[4:7], v[0:1], off offset:16
	global_load_b128 v[0:3], v[0:1], off offset:32
	ds_load_b128 v[36:39], v69 offset:160
	ds_load_b128 v[40:43], v69 offset:320
	;; [unrolled: 1-line block ×3, first 2 shown]
	s_wait_loadcnt_dscnt 0x202
	v_mul_f64_e32 v[48:49], v[38:39], v[10:11]
	v_mul_f64_e32 v[50:51], v[36:37], v[10:11]
	s_wait_loadcnt_dscnt 0x101
	v_mul_f64_e32 v[53:54], v[42:43], v[6:7]
	v_mul_f64_e32 v[55:56], v[40:41], v[6:7]
	;; [unrolled: 3-line block ×3, first 2 shown]
	v_fma_f64 v[48:49], v[36:37], v[8:9], -v[48:49]
	v_fma_f64 v[50:51], v[38:39], v[8:9], v[50:51]
	v_fma_f64 v[40:41], v[40:41], v[4:5], -v[53:54]
	v_fma_f64 v[42:43], v[42:43], v[4:5], v[55:56]
	;; [unrolled: 2-line block ×3, first 2 shown]
	ds_load_b128 v[36:39], v69
	s_wait_dscnt 0x0
	v_add_f64_e64 v[40:41], v[36:37], -v[40:41]
	v_add_f64_e64 v[53:54], v[38:39], -v[42:43]
	;; [unrolled: 1-line block ×4, first 2 shown]
	s_delay_alu instid0(VALU_DEP_4) | instskip(NEXT) | instid1(VALU_DEP_4)
	v_fma_f64 v[46:47], v[36:37], 2.0, -v[40:41]
	v_fma_f64 v[55:56], v[38:39], 2.0, -v[53:54]
	s_delay_alu instid0(VALU_DEP_4) | instskip(NEXT) | instid1(VALU_DEP_4)
	v_fma_f64 v[36:37], v[48:49], 2.0, -v[42:43]
	v_fma_f64 v[38:39], v[50:51], 2.0, -v[44:45]
	v_add_f64_e64 v[48:49], v[40:41], -v[44:45]
	v_add_f64_e32 v[50:51], v[53:54], v[42:43]
	s_delay_alu instid0(VALU_DEP_4) | instskip(NEXT) | instid1(VALU_DEP_4)
	v_add_f64_e64 v[36:37], v[46:47], -v[36:37]
	v_add_f64_e64 v[38:39], v[55:56], -v[38:39]
	s_delay_alu instid0(VALU_DEP_4) | instskip(NEXT) | instid1(VALU_DEP_3)
	v_fma_f64 v[44:45], v[40:41], 2.0, -v[48:49]
	v_fma_f64 v[40:41], v[46:47], 2.0, -v[36:37]
	s_delay_alu instid0(VALU_DEP_3)
	v_fma_f64 v[42:43], v[55:56], 2.0, -v[38:39]
	v_fma_f64 v[46:47], v[53:54], 2.0, -v[50:51]
	v_lshl_add_u32 v53, v57, 4, v70
	ds_store_b128 v53, v[36:39] offset:320
	ds_store_b128 v53, v[48:51] offset:480
	ds_store_b128 v53, v[40:43]
	ds_store_b128 v53, v[44:47] offset:160
	global_wb scope:SCOPE_SE
	s_wait_dscnt 0x0
	s_barrier_signal -1
	s_barrier_wait -1
	global_inv scope:SCOPE_SE
	s_and_saveexec_b32 s8, vcc_lo
	s_cbranch_execz .LBB0_9
; %bb.8:
	global_load_b128 v[72:75], v67, s[12:13] offset:640
	s_add_nc_u64 s[6:7], s[12:13], 0x280
	s_clause 0x8
	global_load_b128 v[76:79], v67, s[6:7] offset:64
	global_load_b128 v[80:83], v67, s[6:7] offset:128
	;; [unrolled: 1-line block ×9, first 2 shown]
	ds_load_b128 v[112:115], v68
	s_wait_loadcnt_dscnt 0x900
	v_mul_f64_e32 v[54:55], v[114:115], v[74:75]
	v_mul_f64_e32 v[74:75], v[112:113], v[74:75]
	s_delay_alu instid0(VALU_DEP_2) | instskip(NEXT) | instid1(VALU_DEP_2)
	v_fma_f64 v[112:113], v[112:113], v[72:73], -v[54:55]
	v_fma_f64 v[114:115], v[114:115], v[72:73], v[74:75]
	ds_store_b128 v68, v[112:115]
	ds_load_b128 v[72:75], v69 offset:64
	s_wait_loadcnt_dscnt 0x800
	v_mul_f64_e32 v[54:55], v[74:75], v[78:79]
	v_mul_f64_e32 v[78:79], v[72:73], v[78:79]
	s_delay_alu instid0(VALU_DEP_2) | instskip(NEXT) | instid1(VALU_DEP_2)
	v_fma_f64 v[72:73], v[72:73], v[76:77], -v[54:55]
	v_fma_f64 v[74:75], v[74:75], v[76:77], v[78:79]
	ds_store_b128 v69, v[72:75] offset:64
	ds_load_b128 v[72:75], v53 offset:128
	ds_load_b128 v[76:79], v53 offset:192
	;; [unrolled: 1-line block ×8, first 2 shown]
	s_wait_loadcnt_dscnt 0x707
	v_mul_f64_e32 v[54:55], v[74:75], v[82:83]
	v_mul_f64_e32 v[82:83], v[72:73], v[82:83]
	s_wait_loadcnt_dscnt 0x606
	v_mul_f64_e32 v[136:137], v[78:79], v[86:87]
	v_mul_f64_e32 v[86:87], v[76:77], v[86:87]
	;; [unrolled: 3-line block ×8, first 2 shown]
	v_fma_f64 v[72:73], v[72:73], v[80:81], -v[54:55]
	v_fma_f64 v[74:75], v[74:75], v[80:81], v[82:83]
	v_fma_f64 v[76:77], v[76:77], v[84:85], -v[136:137]
	v_fma_f64 v[78:79], v[78:79], v[84:85], v[86:87]
	;; [unrolled: 2-line block ×8, first 2 shown]
	ds_store_b128 v53, v[72:75] offset:128
	ds_store_b128 v53, v[76:79] offset:192
	;; [unrolled: 1-line block ×8, first 2 shown]
.LBB0_9:
	s_wait_alu 0xfffe
	s_or_b32 exec_lo, exec_lo, s8
	global_wb scope:SCOPE_SE
	s_wait_dscnt 0x0
	s_barrier_signal -1
	s_barrier_wait -1
	global_inv scope:SCOPE_SE
	s_and_saveexec_b32 s6, vcc_lo
	s_cbranch_execz .LBB0_11
; %bb.10:
	ds_load_b128 v[40:43], v68
	ds_load_b128 v[44:47], v68 offset:64
	ds_load_b128 v[36:39], v53 offset:128
	;; [unrolled: 1-line block ×9, first 2 shown]
.LBB0_11:
	s_wait_alu 0xfffe
	s_or_b32 exec_lo, exec_lo, s6
	global_wb scope:SCOPE_SE
	s_wait_dscnt 0x0
	s_barrier_signal -1
	s_barrier_wait -1
	global_inv scope:SCOPE_SE
	s_and_saveexec_b32 s16, vcc_lo
	s_cbranch_execz .LBB0_13
; %bb.12:
	v_add_f64_e32 v[54:55], v[26:27], v[34:35]
	v_add_f64_e32 v[72:73], v[50:51], v[30:31]
	;; [unrolled: 1-line block ×3, first 2 shown]
	v_add_f64_e64 v[76:77], v[48:49], -v[28:29]
	v_add_f64_e32 v[78:79], v[48:49], v[28:29]
	v_add_f64_e64 v[80:81], v[24:25], -v[32:33]
	s_mov_b32 s8, 0x134454ff
	s_mov_b32 s9, 0xbfee6f0e
	;; [unrolled: 1-line block ×3, first 2 shown]
	s_wait_alu 0xfffe
	s_mov_b32 s6, s8
	v_add_f64_e32 v[82:83], v[22:23], v[18:19]
	v_add_f64_e64 v[84:85], v[50:51], -v[30:31]
	v_add_f64_e64 v[86:87], v[26:27], -v[34:35]
	;; [unrolled: 1-line block ×4, first 2 shown]
	v_add_f64_e32 v[92:93], v[14:15], v[38:39]
	v_add_f64_e64 v[94:95], v[26:27], -v[50:51]
	v_add_f64_e64 v[96:97], v[34:35], -v[30:31]
	v_add_f64_e32 v[98:99], v[20:21], v[16:17]
	v_add_f64_e32 v[100:101], v[12:13], v[36:37]
	s_mov_b32 s14, 0x4755a5e
	s_mov_b32 s15, 0xbfe2cf23
	;; [unrolled: 1-line block ×3, first 2 shown]
	s_wait_alu 0xfffe
	s_mov_b32 s10, s14
	v_add_f64_e32 v[118:119], v[42:43], v[38:39]
	v_add_f64_e32 v[122:123], v[40:41], v[36:37]
	v_add_f64_e64 v[106:107], v[36:37], -v[12:13]
	v_add_f64_e64 v[108:109], v[20:21], -v[16:17]
	;; [unrolled: 1-line block ×7, first 2 shown]
	s_mov_b32 s18, 0x372fe950
	s_mov_b32 s19, 0x3fd3c6ef
	v_add_f64_e64 v[124:125], v[16:17], -v[12:13]
	s_mov_b32 s20, 0x9b97f4a8
	s_mov_b32 s21, 0xbfe9e377
	v_fma_f64 v[54:55], v[54:55], -0.5, v[46:47]
	v_fma_f64 v[72:73], v[72:73], -0.5, v[46:47]
	;; [unrolled: 1-line block ×3, first 2 shown]
	v_add_f64_e32 v[46:47], v[50:51], v[46:47]
	v_fma_f64 v[78:79], v[78:79], -0.5, v[44:45]
	v_add_f64_e32 v[44:45], v[48:49], v[44:45]
	v_add_f64_e64 v[50:51], v[38:39], -v[14:15]
	s_mov_b32 s25, 0x3fe9e377
	s_mov_b32 s24, s20
	;; [unrolled: 1-line block ×3, first 2 shown]
	v_fma_f64 v[48:49], v[82:83], -0.5, v[42:43]
	s_wait_alu 0xfffe
	s_mov_b32 s22, s18
	v_add_f64_e32 v[82:83], v[88:89], v[90:91]
	v_fma_f64 v[42:43], v[92:93], -0.5, v[42:43]
	v_add_f64_e32 v[88:89], v[94:95], v[96:97]
	v_fma_f64 v[90:91], v[98:99], -0.5, v[40:41]
	v_fma_f64 v[40:41], v[100:101], -0.5, v[40:41]
	v_add_f64_e64 v[100:101], v[18:19], -v[14:15]
	v_add_f64_e32 v[110:111], v[110:111], v[112:113]
	v_add_f64_e32 v[112:113], v[114:115], v[116:117]
	v_fma_f64 v[102:103], v[76:77], s[8:9], v[54:55]
	v_fma_f64 v[104:105], v[80:81], s[6:7], v[72:73]
	;; [unrolled: 1-line block ×8, first 2 shown]
	v_add_f64_e32 v[26:27], v[26:27], v[46:47]
	v_add_f64_e32 v[24:25], v[24:25], v[44:45]
	v_fma_f64 v[44:45], v[106:107], s[8:9], v[48:49]
	v_fma_f64 v[48:49], v[106:107], s[6:7], v[48:49]
	;; [unrolled: 1-line block ×11, first 2 shown]
	v_add_f64_e64 v[76:77], v[38:39], -v[22:23]
	v_add_f64_e64 v[38:39], v[22:23], -v[38:39]
	;; [unrolled: 1-line block ×4, first 2 shown]
	v_add_f64_e32 v[22:23], v[22:23], v[118:119]
	v_add_f64_e32 v[20:21], v[20:21], v[122:123]
	v_add_f64_e64 v[80:81], v[14:15], -v[18:19]
	v_add_f64_e64 v[104:105], v[12:13], -v[16:17]
	v_fma_f64 v[94:95], v[84:85], s[10:11], v[94:95]
	v_fma_f64 v[78:79], v[84:85], s[14:15], v[78:79]
	;; [unrolled: 1-line block ×10, first 2 shown]
	v_add_f64_e32 v[38:39], v[100:101], v[38:39]
	v_add_f64_e32 v[36:37], v[124:125], v[36:37]
	;; [unrolled: 1-line block ×8, first 2 shown]
	v_fma_f64 v[24:25], v[108:109], s[14:15], v[44:45]
	v_fma_f64 v[32:33], v[106:107], s[10:11], v[42:43]
	;; [unrolled: 1-line block ×10, first 2 shown]
	v_mul_f64_e32 v[82:83], s[20:21], v[84:85]
	v_mul_f64_e32 v[86:87], s[22:23], v[96:97]
	;; [unrolled: 1-line block ×3, first 2 shown]
	v_fma_f64 v[50:51], v[120:121], s[14:15], v[88:89]
	v_mul_f64_e32 v[88:89], s[24:25], v[54:55]
	v_mul_f64_e32 v[54:55], s[14:15], v[54:55]
	;; [unrolled: 1-line block ×5, first 2 shown]
	v_add_f64_e32 v[18:19], v[14:15], v[18:19]
	v_add_f64_e32 v[22:23], v[30:31], v[22:23]
	;; [unrolled: 1-line block ×4, first 2 shown]
	v_fma_f64 v[24:25], v[76:77], s[18:19], v[24:25]
	v_fma_f64 v[32:33], v[38:39], s[18:19], v[32:33]
	;; [unrolled: 1-line block ×16, first 2 shown]
	v_add_f64_e64 v[14:15], v[18:19], -v[22:23]
	v_add_f64_e64 v[12:13], v[16:17], -v[20:21]
	v_add_f64_e32 v[18:19], v[18:19], v[22:23]
	v_add_f64_e32 v[16:17], v[16:17], v[20:21]
	v_add_f64_e64 v[22:23], v[24:25], -v[34:35]
	v_add_f64_e64 v[26:27], v[28:29], -v[38:39]
	;; [unrolled: 1-line block ×3, first 2 shown]
	v_add_f64_e32 v[42:43], v[32:33], v[42:43]
	v_add_f64_e32 v[46:47], v[76:77], v[50:51]
	;; [unrolled: 1-line block ×8, first 2 shown]
	v_add_f64_e64 v[50:51], v[76:77], -v[50:51]
	v_add_f64_e64 v[48:49], v[80:81], -v[54:55]
	;; [unrolled: 1-line block ×5, first 2 shown]
	v_and_b32_e32 v54, 0xffff, v71
	s_delay_alu instid0(VALU_DEP_1)
	v_lshl_add_u32 v54, v54, 4, v70
	ds_store_b128 v54, v[16:19]
	ds_store_b128 v54, v[44:47] offset:16
	ds_store_b128 v54, v[40:43] offset:32
	;; [unrolled: 1-line block ×9, first 2 shown]
.LBB0_13:
	s_wait_alu 0xfffe
	s_or_b32 exec_lo, exec_lo, s16
	global_wb scope:SCOPE_SE
	s_wait_dscnt 0x0
	s_barrier_signal -1
	s_barrier_wait -1
	global_inv scope:SCOPE_SE
	ds_load_b128 v[12:15], v69 offset:160
	ds_load_b128 v[16:19], v69 offset:320
	;; [unrolled: 1-line block ×3, first 2 shown]
	s_wait_dscnt 0x2
	v_mul_f64_e32 v[24:25], v[10:11], v[14:15]
	v_mul_f64_e32 v[10:11], v[10:11], v[12:13]
	s_wait_dscnt 0x1
	v_mul_f64_e32 v[26:27], v[6:7], v[18:19]
	v_mul_f64_e32 v[6:7], v[6:7], v[16:17]
	;; [unrolled: 3-line block ×3, first 2 shown]
	v_fma_f64 v[12:13], v[8:9], v[12:13], v[24:25]
	v_fma_f64 v[8:9], v[8:9], v[14:15], -v[10:11]
	v_fma_f64 v[10:11], v[4:5], v[16:17], v[26:27]
	v_fma_f64 v[4:5], v[4:5], v[18:19], -v[6:7]
	;; [unrolled: 2-line block ×3, first 2 shown]
	ds_load_b128 v[0:3], v69
	s_wait_dscnt 0x0
	v_add_f64_e64 v[10:11], v[0:1], -v[10:11]
	v_add_f64_e64 v[16:17], v[2:3], -v[4:5]
	;; [unrolled: 1-line block ×4, first 2 shown]
	s_delay_alu instid0(VALU_DEP_4) | instskip(NEXT) | instid1(VALU_DEP_4)
	v_fma_f64 v[14:15], v[0:1], 2.0, -v[10:11]
	v_fma_f64 v[20:21], v[2:3], 2.0, -v[16:17]
	s_delay_alu instid0(VALU_DEP_4) | instskip(NEXT) | instid1(VALU_DEP_4)
	v_fma_f64 v[2:3], v[12:13], 2.0, -v[18:19]
	v_fma_f64 v[6:7], v[8:9], 2.0, -v[4:5]
	v_add_f64_e32 v[0:1], v[10:11], v[4:5]
	s_delay_alu instid0(VALU_DEP_3) | instskip(NEXT) | instid1(VALU_DEP_3)
	v_add_f64_e64 v[4:5], v[14:15], -v[2:3]
	v_add_f64_e64 v[6:7], v[20:21], -v[6:7]
	v_add_f64_e64 v[2:3], v[16:17], -v[18:19]
	s_delay_alu instid0(VALU_DEP_4) | instskip(NEXT) | instid1(VALU_DEP_4)
	v_fma_f64 v[8:9], v[10:11], 2.0, -v[0:1]
	v_fma_f64 v[12:13], v[14:15], 2.0, -v[4:5]
	s_delay_alu instid0(VALU_DEP_4) | instskip(NEXT) | instid1(VALU_DEP_4)
	v_fma_f64 v[14:15], v[20:21], 2.0, -v[6:7]
	v_fma_f64 v[10:11], v[16:17], 2.0, -v[2:3]
	ds_store_b128 v53, v[4:7] offset:320
	ds_store_b128 v53, v[0:3] offset:480
	ds_store_b128 v53, v[12:15]
	ds_store_b128 v53, v[8:11] offset:160
	global_wb scope:SCOPE_SE
	s_wait_dscnt 0x0
	s_barrier_signal -1
	s_barrier_wait -1
	global_inv scope:SCOPE_SE
	s_and_b32 exec_lo, exec_lo, vcc_lo
	s_cbranch_execz .LBB0_15
; %bb.14:
	s_clause 0x9
	global_load_b128 v[0:3], v67, s[12:13]
	global_load_b128 v[4:7], v67, s[12:13] offset:64
	global_load_b128 v[8:11], v67, s[12:13] offset:128
	global_load_b128 v[12:15], v67, s[12:13] offset:192
	global_load_b128 v[16:19], v67, s[12:13] offset:256
	global_load_b128 v[20:23], v67, s[12:13] offset:320
	global_load_b128 v[24:27], v67, s[12:13] offset:384
	global_load_b128 v[28:31], v67, s[12:13] offset:448
	global_load_b128 v[32:35], v67, s[12:13] offset:512
	global_load_b128 v[36:39], v67, s[12:13] offset:576
	ds_load_b128 v[40:43], v68
	ds_load_b128 v[44:47], v53 offset:64
	ds_load_b128 v[48:51], v53 offset:128
	v_mad_co_u64_u32 v[91:92], null, s2, v52, 0
	v_mad_co_u64_u32 v[93:94], null, s0, v57, 0
	;; [unrolled: 1-line block ×4, first 2 shown]
	ds_load_b128 v[67:70], v53 offset:192
	ds_load_b128 v[71:74], v53 offset:256
	v_mad_co_u64_u32 v[99:100], null, s0, v60, 0
	v_mad_co_u64_u32 v[101:102], null, s0, v61, 0
	ds_load_b128 v[75:78], v53 offset:320
	ds_load_b128 v[79:82], v53 offset:384
	v_mad_co_u64_u32 v[103:104], null, s0, v62, 0
	v_mad_co_u64_u32 v[105:106], null, s0, v63, 0
	ds_load_b128 v[83:86], v53 offset:448
	ds_load_b128 v[87:90], v53 offset:512
	v_mad_co_u64_u32 v[107:108], null, s0, v64, 0
	ds_load_b128 v[53:56], v53 offset:576
	v_mad_co_u64_u32 v[109:110], null, s0, v65, 0
	v_mad_co_u64_u32 v[111:112], null, s0, v66, 0
	;; [unrolled: 1-line block ×13, first 2 shown]
	v_mov_b32_e32 v92, v113
	v_mov_b32_e32 v94, v114
	s_mov_b32 s6, 0x9999999a
	s_mov_b32 s7, 0x3f999999
	v_mov_b32_e32 v96, v57
	v_mov_b32_e32 v98, v58
	v_lshlrev_b64_e32 v[57:58], 4, v[91:92]
	v_mov_b32_e32 v100, v59
	v_mov_b32_e32 v102, v60
	v_lshlrev_b64_e32 v[59:60], 4, v[93:94]
	;; [unrolled: 3-line block ×4, first 2 shown]
	v_mov_b32_e32 v112, v65
	v_lshlrev_b64_e32 v[65:66], 4, v[99:100]
	v_lshlrev_b64_e32 v[91:92], 4, v[101:102]
	;; [unrolled: 1-line block ×5, first 2 shown]
	s_wait_loadcnt_dscnt 0x909
	v_mul_f64_e32 v[113:114], v[42:43], v[2:3]
	v_mul_f64_e32 v[2:3], v[40:41], v[2:3]
	s_wait_loadcnt_dscnt 0x808
	v_mul_f64_e32 v[115:116], v[46:47], v[6:7]
	v_mul_f64_e32 v[6:7], v[44:45], v[6:7]
	;; [unrolled: 3-line block ×10, first 2 shown]
	v_fma_f64 v[40:41], v[40:41], v[0:1], v[113:114]
	v_fma_f64 v[2:3], v[0:1], v[42:43], -v[2:3]
	v_fma_f64 v[42:43], v[44:45], v[4:5], v[115:116]
	v_fma_f64 v[6:7], v[4:5], v[46:47], -v[6:7]
	;; [unrolled: 2-line block ×10, first 2 shown]
	v_add_co_u32 v73, vcc_lo, s4, v57
	v_add_co_ci_u32_e32 v74, vcc_lo, s5, v58, vcc_lo
	v_lshlrev_b64_e32 v[54:55], 4, v[109:110]
	s_delay_alu instid0(VALU_DEP_3) | instskip(SKIP_1) | instid1(VALU_DEP_3)
	v_add_co_u32 v58, vcc_lo, v73, v59
	s_wait_alu 0xfffd
	v_add_co_ci_u32_e32 v59, vcc_lo, v74, v60, vcc_lo
	v_add_co_u32 v60, vcc_lo, v73, v61
	s_wait_alu 0xfffd
	v_add_co_ci_u32_e32 v61, vcc_lo, v74, v62, vcc_lo
	;; [unrolled: 3-line block ×3, first 2 shown]
	v_lshlrev_b64_e32 v[56:57], 4, v[111:112]
	s_wait_alu 0xfffe
	v_mul_f64_e32 v[0:1], s[6:7], v[40:41]
	v_mul_f64_e32 v[2:3], s[6:7], v[2:3]
	;; [unrolled: 1-line block ×20, first 2 shown]
	v_add_co_u32 v40, vcc_lo, v73, v65
	s_wait_alu 0xfffd
	v_add_co_ci_u32_e32 v41, vcc_lo, v74, v66, vcc_lo
	v_add_co_u32 v42, vcc_lo, v73, v91
	s_wait_alu 0xfffd
	v_add_co_ci_u32_e32 v43, vcc_lo, v74, v92, vcc_lo
	;; [unrolled: 3-line block ×7, first 2 shown]
	s_clause 0x9
	global_store_b128 v[58:59], v[0:3], off
	global_store_b128 v[60:61], v[4:7], off
	;; [unrolled: 1-line block ×10, first 2 shown]
.LBB0_15:
	s_nop 0
	s_sendmsg sendmsg(MSG_DEALLOC_VGPRS)
	s_endpgm
	.section	.rodata,"a",@progbits
	.p2align	6, 0x0
	.amdhsa_kernel bluestein_single_fwd_len40_dim1_dp_op_CI_CI
		.amdhsa_group_segment_fixed_size 7680
		.amdhsa_private_segment_fixed_size 0
		.amdhsa_kernarg_size 104
		.amdhsa_user_sgpr_count 2
		.amdhsa_user_sgpr_dispatch_ptr 0
		.amdhsa_user_sgpr_queue_ptr 0
		.amdhsa_user_sgpr_kernarg_segment_ptr 1
		.amdhsa_user_sgpr_dispatch_id 0
		.amdhsa_user_sgpr_private_segment_size 0
		.amdhsa_wavefront_size32 1
		.amdhsa_uses_dynamic_stack 0
		.amdhsa_enable_private_segment 0
		.amdhsa_system_sgpr_workgroup_id_x 1
		.amdhsa_system_sgpr_workgroup_id_y 0
		.amdhsa_system_sgpr_workgroup_id_z 0
		.amdhsa_system_sgpr_workgroup_info 0
		.amdhsa_system_vgpr_workitem_id 0
		.amdhsa_next_free_vgpr 150
		.amdhsa_next_free_sgpr 26
		.amdhsa_reserve_vcc 1
		.amdhsa_float_round_mode_32 0
		.amdhsa_float_round_mode_16_64 0
		.amdhsa_float_denorm_mode_32 3
		.amdhsa_float_denorm_mode_16_64 3
		.amdhsa_fp16_overflow 0
		.amdhsa_workgroup_processor_mode 1
		.amdhsa_memory_ordered 1
		.amdhsa_forward_progress 0
		.amdhsa_round_robin_scheduling 0
		.amdhsa_exception_fp_ieee_invalid_op 0
		.amdhsa_exception_fp_denorm_src 0
		.amdhsa_exception_fp_ieee_div_zero 0
		.amdhsa_exception_fp_ieee_overflow 0
		.amdhsa_exception_fp_ieee_underflow 0
		.amdhsa_exception_fp_ieee_inexact 0
		.amdhsa_exception_int_div_zero 0
	.end_amdhsa_kernel
	.text
.Lfunc_end0:
	.size	bluestein_single_fwd_len40_dim1_dp_op_CI_CI, .Lfunc_end0-bluestein_single_fwd_len40_dim1_dp_op_CI_CI
                                        ; -- End function
	.section	.AMDGPU.csdata,"",@progbits
; Kernel info:
; codeLenInByte = 6752
; NumSgprs: 28
; NumVgprs: 150
; ScratchSize: 0
; MemoryBound: 0
; FloatMode: 240
; IeeeMode: 1
; LDSByteSize: 7680 bytes/workgroup (compile time only)
; SGPRBlocks: 3
; VGPRBlocks: 18
; NumSGPRsForWavesPerEU: 28
; NumVGPRsForWavesPerEU: 150
; Occupancy: 9
; WaveLimiterHint : 1
; COMPUTE_PGM_RSRC2:SCRATCH_EN: 0
; COMPUTE_PGM_RSRC2:USER_SGPR: 2
; COMPUTE_PGM_RSRC2:TRAP_HANDLER: 0
; COMPUTE_PGM_RSRC2:TGID_X_EN: 1
; COMPUTE_PGM_RSRC2:TGID_Y_EN: 0
; COMPUTE_PGM_RSRC2:TGID_Z_EN: 0
; COMPUTE_PGM_RSRC2:TIDIG_COMP_CNT: 0
	.text
	.p2alignl 7, 3214868480
	.fill 96, 4, 3214868480
	.type	__hip_cuid_583e3d735bfbdcd0,@object ; @__hip_cuid_583e3d735bfbdcd0
	.section	.bss,"aw",@nobits
	.globl	__hip_cuid_583e3d735bfbdcd0
__hip_cuid_583e3d735bfbdcd0:
	.byte	0                               ; 0x0
	.size	__hip_cuid_583e3d735bfbdcd0, 1

	.ident	"AMD clang version 19.0.0git (https://github.com/RadeonOpenCompute/llvm-project roc-6.4.0 25133 c7fe45cf4b819c5991fe208aaa96edf142730f1d)"
	.section	".note.GNU-stack","",@progbits
	.addrsig
	.addrsig_sym __hip_cuid_583e3d735bfbdcd0
	.amdgpu_metadata
---
amdhsa.kernels:
  - .args:
      - .actual_access:  read_only
        .address_space:  global
        .offset:         0
        .size:           8
        .value_kind:     global_buffer
      - .actual_access:  read_only
        .address_space:  global
        .offset:         8
        .size:           8
        .value_kind:     global_buffer
      - .actual_access:  read_only
        .address_space:  global
        .offset:         16
        .size:           8
        .value_kind:     global_buffer
      - .actual_access:  read_only
        .address_space:  global
        .offset:         24
        .size:           8
        .value_kind:     global_buffer
      - .actual_access:  read_only
        .address_space:  global
        .offset:         32
        .size:           8
        .value_kind:     global_buffer
      - .offset:         40
        .size:           8
        .value_kind:     by_value
      - .address_space:  global
        .offset:         48
        .size:           8
        .value_kind:     global_buffer
      - .address_space:  global
        .offset:         56
        .size:           8
        .value_kind:     global_buffer
      - .address_space:  global
        .offset:         64
        .size:           8
        .value_kind:     global_buffer
      - .address_space:  global
        .offset:         72
        .size:           8
        .value_kind:     global_buffer
      - .offset:         80
        .size:           4
        .value_kind:     by_value
      - .address_space:  global
        .offset:         88
        .size:           8
        .value_kind:     global_buffer
      - .address_space:  global
        .offset:         96
        .size:           8
        .value_kind:     global_buffer
    .group_segment_fixed_size: 7680
    .kernarg_segment_align: 8
    .kernarg_segment_size: 104
    .language:       OpenCL C
    .language_version:
      - 2
      - 0
    .max_flat_workgroup_size: 120
    .name:           bluestein_single_fwd_len40_dim1_dp_op_CI_CI
    .private_segment_fixed_size: 0
    .sgpr_count:     28
    .sgpr_spill_count: 0
    .symbol:         bluestein_single_fwd_len40_dim1_dp_op_CI_CI.kd
    .uniform_work_group_size: 1
    .uses_dynamic_stack: false
    .vgpr_count:     150
    .vgpr_spill_count: 0
    .wavefront_size: 32
    .workgroup_processor_mode: 1
amdhsa.target:   amdgcn-amd-amdhsa--gfx1201
amdhsa.version:
  - 1
  - 2
...

	.end_amdgpu_metadata
